;; amdgpu-corpus repo=ROCm/rocFFT kind=compiled arch=gfx1030 opt=O3
	.text
	.amdgcn_target "amdgcn-amd-amdhsa--gfx1030"
	.amdhsa_code_object_version 6
	.protected	fft_rtc_back_len588_factors_7_3_4_7_wgs_252_tpt_84_half_ip_CI_unitstride_sbrr_R2C_dirReg ; -- Begin function fft_rtc_back_len588_factors_7_3_4_7_wgs_252_tpt_84_half_ip_CI_unitstride_sbrr_R2C_dirReg
	.globl	fft_rtc_back_len588_factors_7_3_4_7_wgs_252_tpt_84_half_ip_CI_unitstride_sbrr_R2C_dirReg
	.p2align	8
	.type	fft_rtc_back_len588_factors_7_3_4_7_wgs_252_tpt_84_half_ip_CI_unitstride_sbrr_R2C_dirReg,@function
fft_rtc_back_len588_factors_7_3_4_7_wgs_252_tpt_84_half_ip_CI_unitstride_sbrr_R2C_dirReg: ; @fft_rtc_back_len588_factors_7_3_4_7_wgs_252_tpt_84_half_ip_CI_unitstride_sbrr_R2C_dirReg
; %bb.0:
	s_load_dwordx4 s[8:11], s[4:5], 0x0
	v_mul_u32_u24_e32 v1, 0x30d, v0
	s_clause 0x1
	s_load_dwordx2 s[2:3], s[4:5], 0x50
	s_load_dwordx2 s[12:13], s[4:5], 0x18
	v_mov_b32_e32 v5, 0
	v_mov_b32_e32 v3, 0
	;; [unrolled: 1-line block ×3, first 2 shown]
	v_lshrrev_b32_e32 v1, 16, v1
	v_mad_u64_u32 v[1:2], null, s6, 3, v[1:2]
	v_mov_b32_e32 v2, v5
	v_mov_b32_e32 v10, v2
	;; [unrolled: 1-line block ×3, first 2 shown]
	s_waitcnt lgkmcnt(0)
	v_cmp_lt_u64_e64 s0, s[10:11], 2
	s_and_b32 vcc_lo, exec_lo, s0
	s_cbranch_vccnz .LBB0_8
; %bb.1:
	s_load_dwordx2 s[0:1], s[4:5], 0x10
	v_mov_b32_e32 v3, 0
	v_mov_b32_e32 v8, v2
	s_add_u32 s6, s12, 8
	v_mov_b32_e32 v4, 0
	v_mov_b32_e32 v7, v1
	s_addc_u32 s7, s13, 0
	s_mov_b64 s[16:17], 1
	s_waitcnt lgkmcnt(0)
	s_add_u32 s14, s0, 8
	s_addc_u32 s15, s1, 0
.LBB0_2:                                ; =>This Inner Loop Header: Depth=1
	s_load_dwordx2 s[18:19], s[14:15], 0x0
                                        ; implicit-def: $vgpr9_vgpr10
	s_mov_b32 s0, exec_lo
	s_waitcnt lgkmcnt(0)
	v_or_b32_e32 v6, s19, v8
	v_cmpx_ne_u64_e32 0, v[5:6]
	s_xor_b32 s1, exec_lo, s0
	s_cbranch_execz .LBB0_4
; %bb.3:                                ;   in Loop: Header=BB0_2 Depth=1
	v_cvt_f32_u32_e32 v2, s18
	v_cvt_f32_u32_e32 v6, s19
	s_sub_u32 s0, 0, s18
	s_subb_u32 s20, 0, s19
	v_fmac_f32_e32 v2, 0x4f800000, v6
	v_rcp_f32_e32 v2, v2
	v_mul_f32_e32 v2, 0x5f7ffffc, v2
	v_mul_f32_e32 v6, 0x2f800000, v2
	v_trunc_f32_e32 v6, v6
	v_fmac_f32_e32 v2, 0xcf800000, v6
	v_cvt_u32_f32_e32 v6, v6
	v_cvt_u32_f32_e32 v2, v2
	v_mul_lo_u32 v9, s0, v6
	v_mul_hi_u32 v10, s0, v2
	v_mul_lo_u32 v11, s20, v2
	v_add_nc_u32_e32 v9, v10, v9
	v_mul_lo_u32 v10, s0, v2
	v_add_nc_u32_e32 v9, v9, v11
	v_mul_hi_u32 v11, v2, v10
	v_mul_lo_u32 v12, v2, v9
	v_mul_hi_u32 v13, v2, v9
	v_mul_hi_u32 v14, v6, v10
	v_mul_lo_u32 v10, v6, v10
	v_mul_hi_u32 v15, v6, v9
	v_mul_lo_u32 v9, v6, v9
	v_add_co_u32 v11, vcc_lo, v11, v12
	v_add_co_ci_u32_e32 v12, vcc_lo, 0, v13, vcc_lo
	v_add_co_u32 v10, vcc_lo, v11, v10
	v_add_co_ci_u32_e32 v10, vcc_lo, v12, v14, vcc_lo
	v_add_co_ci_u32_e32 v11, vcc_lo, 0, v15, vcc_lo
	v_add_co_u32 v9, vcc_lo, v10, v9
	v_add_co_ci_u32_e32 v10, vcc_lo, 0, v11, vcc_lo
	v_add_co_u32 v2, vcc_lo, v2, v9
	v_add_co_ci_u32_e32 v6, vcc_lo, v6, v10, vcc_lo
	v_mul_hi_u32 v9, s0, v2
	v_mul_lo_u32 v11, s20, v2
	v_mul_lo_u32 v10, s0, v6
	v_add_nc_u32_e32 v9, v9, v10
	v_mul_lo_u32 v10, s0, v2
	v_add_nc_u32_e32 v9, v9, v11
	v_mul_hi_u32 v11, v2, v10
	v_mul_lo_u32 v12, v2, v9
	v_mul_hi_u32 v13, v2, v9
	v_mul_hi_u32 v14, v6, v10
	v_mul_lo_u32 v10, v6, v10
	v_mul_hi_u32 v15, v6, v9
	v_mul_lo_u32 v9, v6, v9
	v_add_co_u32 v11, vcc_lo, v11, v12
	v_add_co_ci_u32_e32 v12, vcc_lo, 0, v13, vcc_lo
	v_add_co_u32 v10, vcc_lo, v11, v10
	v_add_co_ci_u32_e32 v10, vcc_lo, v12, v14, vcc_lo
	v_add_co_ci_u32_e32 v11, vcc_lo, 0, v15, vcc_lo
	v_add_co_u32 v9, vcc_lo, v10, v9
	v_add_co_ci_u32_e32 v10, vcc_lo, 0, v11, vcc_lo
	v_add_co_u32 v2, vcc_lo, v2, v9
	v_add_co_ci_u32_e32 v6, vcc_lo, v6, v10, vcc_lo
	v_mul_hi_u32 v15, v7, v2
	v_mad_u64_u32 v[11:12], null, v8, v2, 0
	v_mad_u64_u32 v[9:10], null, v7, v6, 0
	v_mad_u64_u32 v[13:14], null, v8, v6, 0
	v_add_co_u32 v2, vcc_lo, v15, v9
	v_add_co_ci_u32_e32 v6, vcc_lo, 0, v10, vcc_lo
	v_add_co_u32 v2, vcc_lo, v2, v11
	v_add_co_ci_u32_e32 v2, vcc_lo, v6, v12, vcc_lo
	v_add_co_ci_u32_e32 v6, vcc_lo, 0, v14, vcc_lo
	v_add_co_u32 v2, vcc_lo, v2, v13
	v_add_co_ci_u32_e32 v6, vcc_lo, 0, v6, vcc_lo
	v_mul_lo_u32 v11, s19, v2
	v_mad_u64_u32 v[9:10], null, s18, v2, 0
	v_mul_lo_u32 v12, s18, v6
	v_sub_co_u32 v9, vcc_lo, v7, v9
	v_add3_u32 v10, v10, v12, v11
	v_sub_nc_u32_e32 v11, v8, v10
	v_subrev_co_ci_u32_e64 v11, s0, s19, v11, vcc_lo
	v_add_co_u32 v12, s0, v2, 2
	v_add_co_ci_u32_e64 v13, s0, 0, v6, s0
	v_sub_co_u32 v14, s0, v9, s18
	v_sub_co_ci_u32_e32 v10, vcc_lo, v8, v10, vcc_lo
	v_subrev_co_ci_u32_e64 v11, s0, 0, v11, s0
	v_cmp_le_u32_e32 vcc_lo, s18, v14
	v_cmp_eq_u32_e64 s0, s19, v10
	v_cndmask_b32_e64 v14, 0, -1, vcc_lo
	v_cmp_le_u32_e32 vcc_lo, s19, v11
	v_cndmask_b32_e64 v15, 0, -1, vcc_lo
	v_cmp_le_u32_e32 vcc_lo, s18, v9
	;; [unrolled: 2-line block ×3, first 2 shown]
	v_cndmask_b32_e64 v16, 0, -1, vcc_lo
	v_cmp_eq_u32_e32 vcc_lo, s19, v11
	v_cndmask_b32_e64 v9, v16, v9, s0
	v_cndmask_b32_e32 v11, v15, v14, vcc_lo
	v_add_co_u32 v14, vcc_lo, v2, 1
	v_add_co_ci_u32_e32 v15, vcc_lo, 0, v6, vcc_lo
	v_cmp_ne_u32_e32 vcc_lo, 0, v11
	v_cndmask_b32_e32 v10, v15, v13, vcc_lo
	v_cndmask_b32_e32 v11, v14, v12, vcc_lo
	v_cmp_ne_u32_e32 vcc_lo, 0, v9
	v_cndmask_b32_e32 v10, v6, v10, vcc_lo
	v_cndmask_b32_e32 v9, v2, v11, vcc_lo
.LBB0_4:                                ;   in Loop: Header=BB0_2 Depth=1
	s_andn2_saveexec_b32 s0, s1
	s_cbranch_execz .LBB0_6
; %bb.5:                                ;   in Loop: Header=BB0_2 Depth=1
	v_cvt_f32_u32_e32 v2, s18
	s_sub_i32 s1, 0, s18
	v_rcp_iflag_f32_e32 v2, v2
	v_mul_f32_e32 v2, 0x4f7ffffe, v2
	v_cvt_u32_f32_e32 v2, v2
	v_mul_lo_u32 v6, s1, v2
	v_mul_hi_u32 v6, v2, v6
	v_add_nc_u32_e32 v2, v2, v6
	v_mul_hi_u32 v2, v7, v2
	v_mul_lo_u32 v6, v2, s18
	v_add_nc_u32_e32 v9, 1, v2
	v_sub_nc_u32_e32 v6, v7, v6
	v_subrev_nc_u32_e32 v10, s18, v6
	v_cmp_le_u32_e32 vcc_lo, s18, v6
	v_cndmask_b32_e32 v6, v6, v10, vcc_lo
	v_cndmask_b32_e32 v2, v2, v9, vcc_lo
	v_mov_b32_e32 v10, v5
	v_cmp_le_u32_e32 vcc_lo, s18, v6
	v_add_nc_u32_e32 v9, 1, v2
	v_cndmask_b32_e32 v9, v2, v9, vcc_lo
.LBB0_6:                                ;   in Loop: Header=BB0_2 Depth=1
	s_or_b32 exec_lo, exec_lo, s0
	s_load_dwordx2 s[0:1], s[6:7], 0x0
	v_mul_lo_u32 v2, v10, s18
	v_mul_lo_u32 v6, v9, s19
	v_mad_u64_u32 v[11:12], null, v9, s18, 0
	s_add_u32 s16, s16, 1
	s_addc_u32 s17, s17, 0
	s_add_u32 s6, s6, 8
	s_addc_u32 s7, s7, 0
	;; [unrolled: 2-line block ×3, first 2 shown]
	v_add3_u32 v2, v12, v6, v2
	v_sub_co_u32 v6, vcc_lo, v7, v11
	v_sub_co_ci_u32_e32 v2, vcc_lo, v8, v2, vcc_lo
	s_waitcnt lgkmcnt(0)
	v_mul_lo_u32 v7, s1, v6
	v_mul_lo_u32 v2, s0, v2
	v_mad_u64_u32 v[3:4], null, s0, v6, v[3:4]
	v_cmp_ge_u64_e64 s0, s[16:17], s[10:11]
	s_and_b32 vcc_lo, exec_lo, s0
	v_add3_u32 v4, v7, v4, v2
	s_cbranch_vccnz .LBB0_8
; %bb.7:                                ;   in Loop: Header=BB0_2 Depth=1
	v_mov_b32_e32 v7, v9
	v_mov_b32_e32 v8, v10
	s_branch .LBB0_2
.LBB0_8:
	s_lshl_b64 s[0:1], s[10:11], 3
	v_mul_hi_u32 v2, 0xaaaaaaab, v1
	s_add_u32 s0, s12, s0
	s_addc_u32 s1, s13, s1
	s_load_dwordx2 s[4:5], s[4:5], 0x20
	s_load_dwordx2 s[0:1], s[0:1], 0x0
	v_mul_hi_u32 v5, 0x30c30c4, v0
	v_lshrrev_b32_e32 v2, 1, v2
	v_mul_u32_u24_e32 v5, 0x54, v5
	v_lshl_add_u32 v6, v2, 1, v2
	v_sub_nc_u32_e32 v0, v0, v5
	v_sub_nc_u32_e32 v1, v1, v6
	s_waitcnt lgkmcnt(0)
	v_cmp_gt_u64_e32 vcc_lo, s[4:5], v[9:10]
	v_mul_lo_u32 v7, s0, v10
	v_mul_lo_u32 v8, s1, v9
	v_mad_u64_u32 v[2:3], null, s0, v9, v[3:4]
	v_cmp_le_u64_e64 s0, s[4:5], v[9:10]
	v_add_nc_u32_e32 v4, 0x54, v0
	v_add_nc_u32_e32 v6, 0xa8, v0
	v_add3_u32 v3, v8, v3, v7
	s_and_saveexec_b32 s1, s0
	s_xor_b32 s0, exec_lo, s1
; %bb.9:
	v_add_nc_u32_e32 v4, 0x54, v0
	v_add_nc_u32_e32 v6, 0xa8, v0
; %bb.10:
	s_or_saveexec_b32 s1, s0
	v_mul_u32_u24_e32 v1, 0x24d, v1
	v_lshlrev_b64 v[2:3], 2, v[2:3]
	v_lshlrev_b32_e32 v5, 2, v0
	v_lshlrev_b32_e32 v17, 2, v1
	s_xor_b32 exec_lo, exec_lo, s1
	s_cbranch_execz .LBB0_12
; %bb.11:
	v_mov_b32_e32 v1, 0
	v_lshlrev_b64 v[7:8], 2, v[0:1]
	v_add_co_u32 v1, s0, s2, v2
	v_add_co_ci_u32_e64 v9, s0, s3, v3, s0
	v_add_co_u32 v7, s0, v1, v7
	v_add_co_ci_u32_e64 v8, s0, v9, v8, s0
	s_clause 0x6
	global_load_dword v1, v[7:8], off
	global_load_dword v9, v[7:8], off offset:336
	global_load_dword v10, v[7:8], off offset:672
	;; [unrolled: 1-line block ×6, first 2 shown]
	v_add3_u32 v8, 0, v17, v5
	v_add_nc_u32_e32 v14, 0x400, v8
	s_waitcnt vmcnt(5)
	ds_write2_b32 v8, v1, v9 offset1:84
	s_waitcnt vmcnt(3)
	ds_write2_b32 v8, v10, v11 offset0:168 offset1:252
	s_waitcnt vmcnt(1)
	ds_write2_b32 v14, v12, v13 offset0:80 offset1:164
	s_waitcnt vmcnt(0)
	ds_write_b32 v8, v7 offset:2016
.LBB0_12:
	s_or_b32 exec_lo, exec_lo, s1
	v_add3_u32 v1, 0, v5, v17
	s_waitcnt lgkmcnt(0)
	s_barrier
	buffer_gl0_inv
	v_add_nc_u32_e32 v15, 0, v17
	v_add_nc_u32_e32 v13, 0x400, v1
	;; [unrolled: 1-line block ×3, first 2 shown]
	v_mad_u32_u24 v19, v0, 24, v1
	v_cmp_gt_u32_e64 s0, 28, v0
	ds_read2_b32 v[7:8], v1 offset0:84 offset1:168
	ds_read2_b32 v[9:10], v13 offset0:164 offset1:248
	;; [unrolled: 1-line block ×3, first 2 shown]
	v_add_nc_u32_e32 v14, v15, v5
	v_lshl_add_u32 v16, v4, 2, v15
                                        ; implicit-def: $vgpr26
                                        ; implicit-def: $vgpr27
	ds_read_b32 v20, v14
	s_waitcnt lgkmcnt(0)
	s_barrier
	buffer_gl0_inv
	v_pk_add_f16 v21, v7, v10
	v_pk_add_f16 v22, v8, v9
	v_pk_add_f16 v23, v11, v12
	v_pk_add_f16 v8, v8, v9 neg_lo:[0,1] neg_hi:[0,1]
	v_pk_add_f16 v9, v12, v11 neg_lo:[0,1] neg_hi:[0,1]
	;; [unrolled: 1-line block ×3, first 2 shown]
	v_pk_add_f16 v10, v22, v21
	v_pk_add_f16 v11, v22, v21 neg_lo:[0,1] neg_hi:[0,1]
	v_pk_add_f16 v12, v21, v23 neg_lo:[0,1] neg_hi:[0,1]
	v_pk_add_f16 v21, v9, v8
	v_pk_add_f16 v24, v7, v9 neg_lo:[0,1] neg_hi:[0,1]
	v_pk_add_f16 v25, v8, v7 neg_lo:[0,1] neg_hi:[0,1]
	v_pk_add_f16 v8, v9, v8 neg_lo:[0,1] neg_hi:[0,1]
	v_pk_add_f16 v9, v23, v10
	v_pk_add_f16 v22, v23, v22 neg_lo:[0,1] neg_hi:[0,1]
	v_pk_mul_f16 v10, 0x3a52, v12 op_sel_hi:[0,1]
	v_pk_mul_f16 v11, 0x39e0, v11 op_sel_hi:[0,1]
	;; [unrolled: 1-line block ×3, first 2 shown]
	v_pk_add_f16 v20, v20, v9
	v_pk_add_f16 v7, v21, v7
	v_pk_mul_f16 v21, 0xb574, v24 op_sel_hi:[0,1]
	v_pk_add_f16 v23, v10, v11 op_sel:[1,1] op_sel_hi:[0,0] neg_lo:[1,1] neg_hi:[1,1]
	v_pk_fma_f16 v24, 0xb574, v24, v12 op_sel_hi:[0,1,1] neg_lo:[0,1,1] neg_hi:[0,1,1]
	v_pk_fma_f16 v11, 0x2b26, v22, v11 op_sel_hi:[0,1,1] neg_lo:[0,1,0] neg_hi:[0,1,0]
	v_pk_fma_f16 v9, 0xbcab, v9, v20 op_sel_hi:[0,1,1]
	v_pk_fma_f16 v12, 0x3846, v8, v12 op_sel_hi:[0,1,1] neg_lo:[0,1,0] neg_hi:[0,1,0]
	v_pk_fma_f16 v10, 0x2b26, v22, v10 op_sel_hi:[0,1,1]
	v_pk_fma_f16 v8, 0x3846, v8, v21 op_sel_hi:[0,1,1]
	;; [unrolled: 1-line block ×3, first 2 shown]
	v_pk_add_f16 v22, v23, v9 op_sel:[0,1] op_sel_hi:[1,0]
	v_pk_fma_f16 v12, 0xb70e, v7, v12 op_sel_hi:[0,1,1]
	v_pk_add_f16 v11, v11, v9
	v_pk_fma_f16 v7, 0xb70e, v7, v8 op_sel_hi:[0,1,1]
	v_pk_add_f16 v8, v10, v9
	v_pk_add_f16 v9, v22, v21
	v_pk_add_f16 v10, v22, v21 neg_lo:[0,1] neg_hi:[0,1]
	v_pk_add_f16 v21, v11, v12 op_sel:[0,1] op_sel_hi:[1,0] neg_lo:[0,1] neg_hi:[0,1]
	v_pk_add_f16 v11, v11, v12 op_sel:[0,1] op_sel_hi:[1,0]
	v_pk_add_f16 v12, v8, v7 op_sel:[0,1] op_sel_hi:[1,0]
	v_pk_add_f16 v22, v8, v7 op_sel:[0,1] op_sel_hi:[1,0] neg_lo:[0,1] neg_hi:[0,1]
	v_alignbit_b32 v7, v10, v9, 16
	v_alignbit_b32 v9, v9, v10, 16
	v_bfi_b32 v8, 0xffff, v21, v11
	v_bfi_b32 v11, 0xffff, v11, v21
	;; [unrolled: 1-line block ×4, first 2 shown]
	ds_write2_b32 v19, v7, v8 offset0:2 offset1:3
	ds_write2_b32 v19, v11, v9 offset0:4 offset1:5
	ds_write2_b32 v19, v20, v10 offset1:1
	ds_write_b32 v19, v21 offset:24
	s_waitcnt lgkmcnt(0)
	s_barrier
	buffer_gl0_inv
	ds_read2_b32 v[10:11], v18 offset0:68 offset1:152
	ds_read2_b32 v[8:9], v13 offset0:136 offset1:220
	ds_read_b32 v24, v14
	ds_read_u16 v25, v14 offset:2
	ds_read_b32 v7, v16
	v_lshrrev_b32_e32 v23, 16, v12
	v_lshlrev_b32_e32 v18, 2, v6
                                        ; implicit-def: $vgpr13
	s_and_saveexec_b32 s1, s0
	s_cbranch_execz .LBB0_14
; %bb.13:
	v_add3_u32 v12, 0, v18, v17
	v_add_nc_u32_e32 v13, 0x500, v1
	ds_read_b32 v22, v12
	ds_read2_b32 v[12:13], v13 offset0:44 offset1:240
	s_waitcnt lgkmcnt(1)
	v_lshrrev_b32_e32 v23, 16, v22
	s_waitcnt lgkmcnt(0)
	v_lshrrev_b32_e32 v27, 16, v12
	v_lshrrev_b32_e32 v26, 16, v13
.LBB0_14:
	s_or_b32 exec_lo, exec_lo, s1
	v_and_b32_e32 v21, 0xff, v0
	v_and_b32_e32 v19, 0xff, v4
	;; [unrolled: 1-line block ×3, first 2 shown]
	v_mov_b32_e32 v33, 3
	s_waitcnt lgkmcnt(4)
	v_lshrrev_b32_e32 v40, 16, v10
	v_mul_lo_u16 v20, v21, 37
	v_mul_lo_u16 v29, v19, 37
	;; [unrolled: 1-line block ×3, first 2 shown]
	s_waitcnt lgkmcnt(3)
	v_lshrrev_b32_e32 v41, 16, v8
	v_lshrrev_b32_e32 v43, 16, v11
	v_lshrrev_b16 v20, 8, v20
	v_lshrrev_b16 v29, 8, v29
	;; [unrolled: 1-line block ×3, first 2 shown]
	v_lshrrev_b32_e32 v44, 16, v9
	v_sub_nc_u16 v30, v0, v20
	v_sub_nc_u16 v31, v4, v29
	;; [unrolled: 1-line block ×3, first 2 shown]
	v_lshrrev_b16 v30, 1, v30
	v_lshrrev_b16 v31, 1, v31
	;; [unrolled: 1-line block ×3, first 2 shown]
	v_and_b32_e32 v30, 0x7f, v30
	v_and_b32_e32 v31, 0x7f, v31
	v_add_nc_u16 v20, v30, v20
	v_and_b32_e32 v30, 0x7f, v32
	v_add_nc_u16 v29, v31, v29
	v_lshrrev_b16 v37, 2, v20
	v_add_nc_u16 v20, v30, v28
	v_lshrrev_b16 v30, 2, v29
	v_mul_lo_u16 v29, v37, 7
	v_lshrrev_b16 v28, 2, v20
	v_mul_lo_u16 v20, v30, 7
	v_and_b32_e32 v37, 0xffff, v37
	v_and_b32_e32 v42, 0xffff, v30
	v_sub_nc_u16 v38, v0, v29
	v_mul_lo_u16 v29, v28, 7
	v_sub_nc_u16 v39, v4, v20
	v_mov_b32_e32 v30, 2
	v_mad_u32_u24 v37, 0x54, v37, 0
	v_lshlrev_b32_sdwa v20, v33, v38 dst_sel:DWORD dst_unused:UNUSED_PAD src0_sel:DWORD src1_sel:BYTE_0
	v_sub_nc_u16 v29, v6, v29
	v_lshlrev_b32_sdwa v34, v33, v39 dst_sel:DWORD dst_unused:UNUSED_PAD src0_sel:DWORD src1_sel:BYTE_0
	v_mad_u32_u24 v42, 0x54, v42, 0
	v_lshlrev_b32_sdwa v38, v30, v38 dst_sel:DWORD dst_unused:UNUSED_PAD src0_sel:DWORD src1_sel:BYTE_0
	global_load_dwordx2 v[31:32], v20, s[8:9]
	v_lshlrev_b32_sdwa v20, v33, v29 dst_sel:DWORD dst_unused:UNUSED_PAD src0_sel:DWORD src1_sel:BYTE_0
	v_lshlrev_b32_sdwa v39, v30, v39 dst_sel:DWORD dst_unused:UNUSED_PAD src0_sel:DWORD src1_sel:BYTE_0
	s_clause 0x1
	global_load_dwordx2 v[33:34], v34, s[8:9]
	global_load_dwordx2 v[35:36], v20, s[8:9]
	v_add3_u32 v37, v37, v38, v17
	v_add3_u32 v38, v42, v39, v17
	s_waitcnt lgkmcnt(0)
	v_lshrrev_b32_e32 v20, 16, v7
	s_waitcnt vmcnt(0)
	s_barrier
	buffer_gl0_inv
	v_mul_f16_sdwa v39, v31, v40 dst_sel:DWORD dst_unused:UNUSED_PAD src0_sel:WORD_1 src1_sel:DWORD
	v_mul_f16_sdwa v42, v31, v10 dst_sel:DWORD dst_unused:UNUSED_PAD src0_sel:WORD_1 src1_sel:DWORD
	;; [unrolled: 1-line block ×8, first 2 shown]
	v_mul_f16_sdwa v51, v27, v35 dst_sel:DWORD dst_unused:UNUSED_PAD src0_sel:DWORD src1_sel:WORD_1
	v_mul_f16_sdwa v52, v12, v35 dst_sel:DWORD dst_unused:UNUSED_PAD src0_sel:DWORD src1_sel:WORD_1
	;; [unrolled: 1-line block ×4, first 2 shown]
	v_fmac_f16_e32 v39, v31, v10
	v_fma_f16 v10, v31, v40, -v42
	v_fmac_f16_e32 v45, v32, v8
	v_fma_f16 v8, v32, v41, -v46
	;; [unrolled: 2-line block ×6, first 2 shown]
	v_add_f16_e32 v27, v39, v45
	v_add_f16_e32 v34, v10, v8
	;; [unrolled: 1-line block ×3, first 2 shown]
	v_sub_f16_e32 v35, v39, v45
	v_add_f16_e32 v39, v47, v49
	v_sub_f16_e32 v40, v11, v31
	v_add_f16_e32 v41, v20, v11
	v_add_f16_e32 v11, v11, v31
	v_sub_f16_e32 v32, v10, v8
	v_add_f16_e32 v33, v25, v10
	;; [unrolled: 3-line block ×3, first 2 shown]
	v_add_f16_e32 v12, v12, v13
	v_fmac_f16_e32 v24, -0.5, v27
	v_fmac_f16_e32 v25, -0.5, v34
	v_add_f16_e32 v36, v7, v47
	v_sub_f16_e32 v42, v47, v49
	v_fmac_f16_e32 v7, -0.5, v39
	v_fmac_f16_e32 v20, -0.5, v11
	v_add_f16_e32 v43, v22, v51
	v_sub_f16_e32 v10, v51, v53
	v_add_f16_e32 v45, v26, v45
	v_add_f16_e32 v27, v33, v8
	v_fmac_f16_e32 v22, -0.5, v44
	v_fmac_f16_e32 v23, -0.5, v12
	v_fmamk_f16 v34, v32, 0xbaee, v24
	v_fmac_f16_e32 v24, 0x3aee, v32
	v_fmamk_f16 v32, v35, 0x3aee, v25
	v_fmac_f16_e32 v25, 0xbaee, v35
	v_add_f16_e32 v33, v36, v49
	v_add_f16_e32 v31, v41, v31
	v_fmamk_f16 v11, v40, 0xbaee, v7
	v_fmamk_f16 v12, v42, 0x3aee, v20
	v_fmac_f16_e32 v7, 0x3aee, v40
	v_fmac_f16_e32 v20, 0xbaee, v42
	v_add_f16_e32 v8, v43, v53
	v_add_f16_e32 v13, v46, v13
	v_fmamk_f16 v26, v9, 0xbaee, v22
	v_pack_b32_f16 v27, v45, v27
	v_pack_b32_f16 v32, v34, v32
	;; [unrolled: 1-line block ×3, first 2 shown]
	v_fmamk_f16 v24, v10, 0x3aee, v23
	v_pack_b32_f16 v31, v33, v31
	v_pack_b32_f16 v33, v11, v12
	;; [unrolled: 1-line block ×3, first 2 shown]
	ds_write2_b32 v37, v27, v32 offset1:7
	ds_write_b32 v37, v25 offset:56
	ds_write2_b32 v38, v31, v33 offset1:7
	ds_write_b32 v38, v34 offset:56
	s_and_saveexec_b32 s1, s0
	s_cbranch_execz .LBB0_16
; %bb.15:
	v_mul_f16_e32 v10, 0x3aee, v10
	v_and_b32_e32 v25, 0xffff, v28
	v_mul_f16_e32 v9, 0x3aee, v9
	v_lshlrev_b32_sdwa v27, v30, v29 dst_sel:DWORD dst_unused:UNUSED_PAD src0_sel:DWORD src1_sel:BYTE_0
	v_sub_f16_e32 v10, v23, v10
	v_mad_u32_u24 v23, 0x54, v25, 0
	v_add_f16_e32 v9, v9, v22
	v_perm_b32 v22, v13, v8, 0x5040100
	v_perm_b32 v25, v24, v26, 0x5040100
	v_add3_u32 v23, v23, v27, v17
	v_pack_b32_f16 v9, v9, v10
	ds_write2_b32 v23, v22, v25 offset1:7
	ds_write_b32 v23, v9 offset:56
.LBB0_16:
	s_or_b32 exec_lo, exec_lo, s1
	v_add_nc_u32_e32 v25, 0x200, v1
	s_waitcnt lgkmcnt(0)
	s_barrier
	buffer_gl0_inv
	v_cmp_gt_u32_e64 s0, 63, v0
	ds_read2_b32 v[9:10], v25 offset0:19 offset1:166
	ds_read_b32 v22, v14
	ds_read_b32 v23, v1 offset:1764
	s_and_saveexec_b32 s1, s0
	s_cbranch_execz .LBB0_18
; %bb.17:
	ds_read_b32 v11, v16
	ds_read2_b32 v[7:8], v25 offset0:103 offset1:250
	ds_read_b32 v26, v1 offset:2100
	s_waitcnt lgkmcnt(2)
	v_lshrrev_b32_e32 v12, 16, v11
	s_waitcnt lgkmcnt(1)
	v_lshrrev_b32_e32 v20, 16, v7
	v_lshrrev_b32_e32 v13, 16, v8
	s_waitcnt lgkmcnt(0)
	v_lshrrev_b32_e32 v24, 16, v26
.LBB0_18:
	s_or_b32 exec_lo, exec_lo, s1
	v_mul_lo_u16 v21, 0x87, v21
	s_waitcnt lgkmcnt(2)
	v_lshrrev_b32_e32 v31, 16, v9
	v_lshrrev_b32_e32 v32, 16, v10
	s_waitcnt lgkmcnt(0)
	v_lshrrev_b32_e32 v34, 16, v23
	v_lshrrev_b32_e32 v33, 16, v22
	v_lshrrev_b16 v21, 8, v21
	v_sub_nc_u16 v25, v0, v21
	v_lshrrev_b16 v25, 1, v25
	v_and_b32_e32 v25, 0x7f, v25
	v_add_nc_u16 v21, v25, v21
	v_lshrrev_b16 v21, 4, v21
	v_and_b32_e32 v25, 15, v21
	v_mov_b32_e32 v21, 3
	v_mul_lo_u16 v27, v25, 21
	v_and_b32_e32 v25, 0xffff, v25
	v_sub_nc_u16 v30, v0, v27
	v_mad_u32_u24 v25, 0x150, v25, 0
	v_mul_u32_u24_sdwa v27, v30, v21 dst_sel:DWORD dst_unused:UNUSED_PAD src0_sel:BYTE_0 src1_sel:DWORD
	v_lshlrev_b32_e32 v27, 2, v27
	global_load_dwordx3 v[27:29], v27, s[8:9] offset:56
	s_waitcnt vmcnt(0)
	s_barrier
	buffer_gl0_inv
	v_mul_f16_sdwa v35, v27, v31 dst_sel:DWORD dst_unused:UNUSED_PAD src0_sel:WORD_1 src1_sel:DWORD
	v_mul_f16_sdwa v36, v27, v9 dst_sel:DWORD dst_unused:UNUSED_PAD src0_sel:WORD_1 src1_sel:DWORD
	;; [unrolled: 1-line block ×6, first 2 shown]
	v_fmac_f16_e32 v35, v27, v9
	v_fma_f16 v27, v27, v31, -v36
	v_fmac_f16_e32 v37, v28, v10
	v_fma_f16 v10, v28, v32, -v38
	;; [unrolled: 2-line block ×3, first 2 shown]
	v_mov_b32_e32 v9, 2
	v_sub_f16_e32 v28, v22, v37
	v_sub_f16_e32 v10, v33, v10
	;; [unrolled: 1-line block ×4, first 2 shown]
	v_lshlrev_b32_sdwa v30, v9, v30 dst_sel:DWORD dst_unused:UNUSED_PAD src0_sel:DWORD src1_sel:BYTE_0
	v_fma_f16 v22, v22, 2.0, -v28
	v_fma_f16 v31, v33, 2.0, -v10
	;; [unrolled: 1-line block ×4, first 2 shown]
	v_add_f16_e32 v23, v28, v23
	v_sub_f16_e32 v29, v10, v29
	v_add3_u32 v25, v25, v30, v17
	v_sub_f16_e32 v32, v22, v32
	v_sub_f16_e32 v27, v31, v27
	v_fma_f16 v28, v28, 2.0, -v23
	v_fma_f16 v10, v10, 2.0, -v29
	v_pack_b32_f16 v23, v23, v29
	v_fma_f16 v22, v22, 2.0, -v32
	v_fma_f16 v31, v31, 2.0, -v27
	v_pack_b32_f16 v27, v32, v27
	v_pack_b32_f16 v10, v28, v10
	;; [unrolled: 1-line block ×3, first 2 shown]
	ds_write2_b32 v25, v22, v10 offset1:21
	ds_write2_b32 v25, v27, v23 offset0:42 offset1:63
	s_and_saveexec_b32 s1, s0
	s_cbranch_execz .LBB0_20
; %bb.19:
	v_mul_lo_u16 v10, 0x87, v19
	v_lshrrev_b16 v10, 8, v10
	v_sub_nc_u16 v19, v4, v10
	v_lshrrev_b16 v19, 1, v19
	v_and_b32_e32 v19, 0x7f, v19
	v_add_nc_u16 v10, v19, v10
	v_lshrrev_b16 v10, 4, v10
	v_and_b32_e32 v10, 15, v10
	v_mul_lo_u16 v19, v10, 21
	v_and_b32_e32 v10, 0xffff, v10
	v_sub_nc_u16 v19, v4, v19
	v_mad_u32_u24 v10, 0x150, v10, 0
	v_mul_u32_u24_sdwa v21, v19, v21 dst_sel:DWORD dst_unused:UNUSED_PAD src0_sel:BYTE_0 src1_sel:DWORD
	v_lshlrev_b32_sdwa v9, v9, v19 dst_sel:DWORD dst_unused:UNUSED_PAD src0_sel:DWORD src1_sel:BYTE_0
	v_lshlrev_b32_e32 v21, 2, v21
	v_add3_u32 v9, v10, v9, v17
	global_load_dwordx3 v[21:23], v21, s[8:9] offset:56
	s_waitcnt vmcnt(0)
	v_mul_f16_sdwa v25, v13, v22 dst_sel:DWORD dst_unused:UNUSED_PAD src0_sel:DWORD src1_sel:WORD_1
	v_mul_f16_sdwa v27, v7, v21 dst_sel:DWORD dst_unused:UNUSED_PAD src0_sel:DWORD src1_sel:WORD_1
	;; [unrolled: 1-line block ×6, first 2 shown]
	v_fmac_f16_e32 v25, v8, v22
	v_fma_f16 v8, v20, v21, -v27
	v_fmac_f16_e32 v29, v7, v21
	v_fmac_f16_e32 v30, v26, v23
	v_fma_f16 v7, v13, v22, -v31
	v_fma_f16 v13, v24, v23, -v28
	v_sub_f16_e32 v20, v11, v25
	v_sub_f16_e32 v21, v29, v30
	v_sub_f16_e32 v7, v12, v7
	v_sub_f16_e32 v13, v8, v13
	v_fma_f16 v11, v11, 2.0, -v20
	v_fma_f16 v22, v29, 2.0, -v21
	;; [unrolled: 1-line block ×4, first 2 shown]
	v_add_f16_e32 v13, v20, v13
	v_sub_f16_e32 v21, v7, v21
	v_sub_f16_e32 v22, v11, v22
	;; [unrolled: 1-line block ×3, first 2 shown]
	v_fma_f16 v19, v20, 2.0, -v13
	v_fma_f16 v7, v7, 2.0, -v21
	;; [unrolled: 1-line block ×3, first 2 shown]
	v_pack_b32_f16 v10, v13, v21
	v_fma_f16 v12, v12, 2.0, -v8
	v_pack_b32_f16 v8, v22, v8
	v_pack_b32_f16 v7, v19, v7
	;; [unrolled: 1-line block ×3, first 2 shown]
	ds_write2_b32 v9, v11, v7 offset1:21
	ds_write2_b32 v9, v8, v10 offset0:42 offset1:63
.LBB0_20:
	s_or_b32 exec_lo, exec_lo, s1
	v_mul_u32_u24_e32 v7, 6, v0
	s_waitcnt lgkmcnt(0)
	s_barrier
	buffer_gl0_inv
	v_add3_u32 v13, 0, v18, v17
	v_lshlrev_b32_e32 v11, 2, v7
	v_add_nc_u32_e32 v17, 0x200, v1
	v_add_nc_u32_e32 v21, 0x400, v1
	s_add_u32 s1, s8, 0x914
	s_addc_u32 s4, s9, 0
	s_clause 0x1
	global_load_dwordx4 v[7:10], v11, s[8:9] offset:308
	global_load_dwordx2 v[11:12], v11, s[8:9] offset:324
	ds_read_b32 v22, v16
	ds_read_b32 v13, v13
	ds_read2_b32 v[17:18], v17 offset0:124 offset1:208
	ds_read2_b32 v[19:20], v21 offset0:164 offset1:248
	ds_read_b32 v23, v14
	s_waitcnt vmcnt(0) lgkmcnt(0)
	s_barrier
	buffer_gl0_inv
	s_mov_b32 s5, exec_lo
	v_lshrrev_b32_e32 v24, 16, v22
	v_lshrrev_b32_e32 v25, 16, v13
	;; [unrolled: 1-line block ×6, first 2 shown]
	v_mul_f16_sdwa v30, v7, v24 dst_sel:DWORD dst_unused:UNUSED_PAD src0_sel:WORD_1 src1_sel:DWORD
	v_mul_f16_sdwa v31, v7, v22 dst_sel:DWORD dst_unused:UNUSED_PAD src0_sel:WORD_1 src1_sel:DWORD
	;; [unrolled: 1-line block ×12, first 2 shown]
	v_fmac_f16_e32 v30, v7, v22
	v_fma_f16 v7, v7, v24, -v31
	v_fmac_f16_e32 v32, v8, v13
	v_fma_f16 v8, v8, v25, -v33
	;; [unrolled: 2-line block ×6, first 2 shown]
	v_add_f16_e32 v13, v30, v40
	v_add_f16_e32 v17, v7, v12
	v_sub_f16_e32 v7, v7, v12
	v_add_f16_e32 v12, v32, v38
	v_add_f16_e32 v19, v8, v11
	v_sub_f16_e32 v18, v30, v40
	v_sub_f16_e32 v20, v32, v38
	;; [unrolled: 1-line block ×3, first 2 shown]
	v_add_f16_e32 v11, v34, v36
	v_add_f16_e32 v22, v9, v10
	v_sub_f16_e32 v24, v36, v34
	v_sub_f16_e32 v9, v10, v9
	v_add_f16_e32 v10, v12, v13
	v_add_f16_e32 v25, v19, v17
	v_sub_f16_e32 v26, v12, v13
	v_sub_f16_e32 v27, v19, v17
	;; [unrolled: 1-line block ×6, first 2 shown]
	v_add_f16_e32 v28, v24, v20
	v_add_f16_e32 v29, v9, v8
	v_sub_f16_e32 v30, v24, v20
	v_sub_f16_e32 v31, v9, v8
	;; [unrolled: 1-line block ×3, first 2 shown]
	v_add_f16_e32 v10, v11, v10
	v_add_f16_e32 v11, v22, v25
	v_sub_f16_e32 v8, v8, v7
	v_sub_f16_e32 v24, v18, v24
	;; [unrolled: 1-line block ×3, first 2 shown]
	v_add_f16_e32 v18, v28, v18
	v_add_f16_e32 v7, v29, v7
	v_mul_f16_e32 v13, 0x3a52, v13
	v_mul_f16_e32 v17, 0x3a52, v17
	;; [unrolled: 1-line block ×7, first 2 shown]
	v_add_f16_e32 v32, v10, v23
	v_add_f16_sdwa v23, v11, v23 dst_sel:DWORD dst_unused:UNUSED_PAD src0_sel:DWORD src1_sel:WORD_1
	v_mul_f16_e32 v31, 0xbb00, v8
	v_fmamk_f16 v12, v12, 0x2b26, v13
	v_fmamk_f16 v19, v19, 0x2b26, v17
	v_fma_f16 v22, v26, 0x39e0, -v22
	v_fma_f16 v25, v27, 0x39e0, -v25
	;; [unrolled: 1-line block ×4, first 2 shown]
	v_fmamk_f16 v26, v24, 0xb574, v28
	v_fmamk_f16 v27, v9, 0xb574, v29
	v_fma_f16 v20, v20, 0xbb00, -v28
	v_fma_f16 v24, v24, 0x3574, -v30
	v_fmamk_f16 v10, v10, 0xbcab, v32
	v_fmamk_f16 v11, v11, 0xbcab, v23
	v_fma_f16 v8, v8, 0xbb00, -v29
	v_fma_f16 v9, v9, 0x3574, -v31
	v_fmac_f16_e32 v26, 0xb70e, v18
	v_fmac_f16_e32 v27, 0xb70e, v7
	v_fmac_f16_e32 v20, 0xb70e, v18
	v_fmac_f16_e32 v24, 0xb70e, v18
	v_add_f16_e32 v12, v12, v10
	v_add_f16_e32 v18, v19, v11
	v_fmac_f16_e32 v8, 0xb70e, v7
	v_fmac_f16_e32 v9, 0xb70e, v7
	v_add_f16_e32 v19, v22, v10
	v_add_f16_e32 v10, v13, v10
	;; [unrolled: 1-line block ×5, first 2 shown]
	v_sub_f16_e32 v22, v18, v26
	v_pack_b32_f16 v7, v32, v23
	v_add_f16_e32 v23, v9, v10
	v_sub_f16_e32 v25, v13, v24
	v_sub_f16_e32 v28, v19, v8
	v_add_f16_e32 v29, v20, v11
	v_add_f16_e32 v8, v8, v19
	v_sub_f16_e32 v11, v11, v20
	v_sub_f16_e32 v9, v10, v9
	v_add_f16_e32 v10, v24, v13
	v_sub_f16_e32 v12, v12, v27
	v_add_f16_e32 v13, v26, v18
	v_pack_b32_f16 v17, v17, v22
	v_pack_b32_f16 v18, v23, v25
	;; [unrolled: 1-line block ×6, first 2 shown]
	ds_write2_b32 v1, v7, v17 offset1:84
	ds_write2_b32 v1, v18, v19 offset0:168 offset1:252
	ds_write2_b32 v21, v8, v9 offset0:80 offset1:164
	ds_write_b32 v1, v10 offset:2016
	s_waitcnt lgkmcnt(0)
	s_barrier
	buffer_gl0_inv
	ds_read_b32 v7, v14
	v_sub_nc_u32_e32 v8, v15, v5
                                        ; implicit-def: $vgpr9
                                        ; implicit-def: $vgpr1
	v_cmpx_ne_u32_e32 0, v0
	s_xor_b32 s5, exec_lo, s5
	s_cbranch_execz .LBB0_22
; %bb.21:
	v_mov_b32_e32 v1, 0
	v_lshlrev_b64 v[9:10], 2, v[0:1]
	ds_read_b32 v1, v8 offset:2352
	v_add_co_u32 v9, s0, s1, v9
	v_add_co_ci_u32_e64 v10, s0, s4, v10, s0
	global_load_dword v5, v[9:10], off
	s_waitcnt lgkmcnt(0)
	v_sub_f16_e32 v9, v7, v1
	v_add_f16_sdwa v10, v1, v7 dst_sel:DWORD dst_unused:UNUSED_PAD src0_sel:WORD_1 src1_sel:WORD_1
	v_sub_f16_sdwa v11, v7, v1 dst_sel:DWORD dst_unused:UNUSED_PAD src0_sel:WORD_1 src1_sel:WORD_1
	v_add_f16_e32 v7, v1, v7
	v_mul_f16_e32 v9, 0.5, v9
	v_mul_f16_e32 v10, 0.5, v10
	v_mul_f16_e32 v11, 0.5, v11
	s_waitcnt vmcnt(0)
	v_lshrrev_b32_e32 v12, 16, v5
	v_mul_f16_e32 v13, v12, v9
	v_fma_f16 v17, v10, v12, v11
	v_fma_f16 v11, v10, v12, -v11
	v_fma_f16 v1, 0.5, v7, v13
	v_fma_f16 v7, v7, 0.5, -v13
	v_fma_f16 v12, -v5, v9, v17
	v_fma_f16 v11, -v5, v9, v11
	ds_write_b16 v14, v12 offset:2
	ds_write_b16 v8, v11 offset:2354
	v_fmac_f16_e32 v1, v5, v10
	v_fma_f16 v9, -v5, v10, v7
                                        ; implicit-def: $vgpr7
.LBB0_22:
	s_andn2_saveexec_b32 s0, s5
	s_cbranch_execz .LBB0_24
; %bb.23:
	v_mov_b32_e32 v1, 0
	s_waitcnt lgkmcnt(0)
	v_sub_f16_sdwa v9, v7, v7 dst_sel:DWORD dst_unused:UNUSED_PAD src0_sel:DWORD src1_sel:WORD_1
	ds_write_b16 v14, v1 offset:2
	ds_write_b16 v8, v1 offset:2354
	ds_read_u16 v5, v15 offset:1178
	v_add_f16_sdwa v1, v7, v7 dst_sel:DWORD dst_unused:UNUSED_PAD src0_sel:WORD_1 src1_sel:DWORD
	s_waitcnt lgkmcnt(0)
	v_xor_b32_e32 v5, 0x8000, v5
	ds_write_b16 v15, v5 offset:1178
.LBB0_24:
	s_or_b32 exec_lo, exec_lo, s0
	v_mov_b32_e32 v5, 0
	s_mov_b32 s5, exec_lo
	v_lshlrev_b64 v[10:11], 2, v[4:5]
	s_waitcnt lgkmcnt(0)
	v_mov_b32_e32 v7, v5
	v_add_co_u32 v10, s0, s1, v10
	v_add_co_ci_u32_e64 v11, s0, s4, v11, s0
	global_load_dword v4, v[10:11], off
	v_lshlrev_b64 v[10:11], 2, v[6:7]
	v_lshl_add_u32 v6, v6, 2, v15
	v_add_co_u32 v10, s0, s1, v10
	v_add_co_ci_u32_e64 v11, s0, s4, v11, s0
	global_load_dword v7, v[10:11], off
	ds_write_b16 v14, v1
	ds_write_b16 v8, v9 offset:2352
	ds_read_b32 v1, v16
	ds_read_b32 v9, v8 offset:2016
	s_waitcnt lgkmcnt(0)
	v_pk_add_f16 v10, v1, v9 neg_lo:[0,1] neg_hi:[0,1]
	v_pk_add_f16 v1, v1, v9
	v_bfi_b32 v9, 0xffff, v10, v1
	v_bfi_b32 v1, 0xffff, v1, v10
	v_pk_mul_f16 v9, v9, 0.5 op_sel_hi:[1,0]
	v_pk_mul_f16 v1, v1, 0.5 op_sel_hi:[1,0]
	s_waitcnt vmcnt(1)
	v_pk_fma_f16 v10, v4, v9, v1 op_sel:[1,0,0]
	v_pk_mul_f16 v11, v4, v9 op_sel_hi:[0,1]
	v_pk_fma_f16 v12, v4, v9, v1 op_sel:[1,0,0] neg_lo:[1,0,0] neg_hi:[1,0,0]
	v_pk_fma_f16 v1, v4, v9, v1 op_sel:[1,0,0] neg_lo:[0,0,1] neg_hi:[0,0,1]
	v_pk_add_f16 v4, v10, v11 op_sel:[0,1] op_sel_hi:[1,0]
	v_pk_add_f16 v9, v10, v11 op_sel:[0,1] op_sel_hi:[1,0] neg_lo:[0,1] neg_hi:[0,1]
	v_pk_add_f16 v10, v12, v11 op_sel:[0,1] op_sel_hi:[1,0] neg_lo:[0,1] neg_hi:[0,1]
	;; [unrolled: 1-line block ×3, first 2 shown]
	v_bfi_b32 v4, 0xffff, v4, v9
	v_bfi_b32 v1, 0xffff, v10, v1
	ds_write_b32 v16, v4
	ds_write_b32 v8, v1 offset:2016
	ds_read_b32 v1, v6
	ds_read_b32 v4, v8 offset:1680
	s_waitcnt lgkmcnt(0)
	v_pk_add_f16 v9, v1, v4 neg_lo:[0,1] neg_hi:[0,1]
	v_pk_add_f16 v1, v1, v4
	v_bfi_b32 v4, 0xffff, v9, v1
	v_bfi_b32 v1, 0xffff, v1, v9
	v_pk_mul_f16 v4, v4, 0.5 op_sel_hi:[1,0]
	v_pk_mul_f16 v1, v1, 0.5 op_sel_hi:[1,0]
	s_waitcnt vmcnt(0)
	v_pk_mul_f16 v10, v7, v4 op_sel_hi:[0,1]
	v_pk_fma_f16 v9, v7, v4, v1 op_sel:[1,0,0]
	v_pk_fma_f16 v11, v7, v4, v1 op_sel:[1,0,0] neg_lo:[1,0,0] neg_hi:[1,0,0]
	v_pk_fma_f16 v1, v7, v4, v1 op_sel:[1,0,0] neg_lo:[0,0,1] neg_hi:[0,0,1]
	v_pk_add_f16 v4, v9, v10 op_sel:[0,1] op_sel_hi:[1,0]
	v_pk_add_f16 v7, v9, v10 op_sel:[0,1] op_sel_hi:[1,0] neg_lo:[0,1] neg_hi:[0,1]
	v_pk_add_f16 v9, v11, v10 op_sel:[0,1] op_sel_hi:[1,0] neg_lo:[0,1] neg_hi:[0,1]
	;; [unrolled: 1-line block ×3, first 2 shown]
	v_bfi_b32 v4, 0xffff, v4, v7
	v_bfi_b32 v1, 0xffff, v9, v1
	ds_write_b32 v6, v4
	ds_write_b32 v8, v1 offset:1680
	v_cmpx_gt_u32_e32 42, v0
	s_cbranch_execz .LBB0_26
; %bb.25:
	v_mov_b32_e32 v1, v5
	v_lshlrev_b64 v[4:5], 2, v[0:1]
	v_add_co_u32 v4, s0, s1, v4
	v_add_co_ci_u32_e64 v5, s0, s4, v5, s0
	global_load_dword v1, v[4:5], off offset:1008
	ds_read_b32 v4, v14 offset:1008
	ds_read_b32 v5, v8 offset:1344
	s_waitcnt lgkmcnt(0)
	v_pk_add_f16 v6, v4, v5 neg_lo:[0,1] neg_hi:[0,1]
	v_pk_add_f16 v4, v4, v5
	v_bfi_b32 v5, 0xffff, v6, v4
	v_bfi_b32 v4, 0xffff, v4, v6
	v_pk_mul_f16 v5, v5, 0.5 op_sel_hi:[1,0]
	v_pk_mul_f16 v4, v4, 0.5 op_sel_hi:[1,0]
	s_waitcnt vmcnt(0)
	v_pk_fma_f16 v6, v1, v5, v4 op_sel:[1,0,0]
	v_pk_mul_f16 v7, v1, v5 op_sel_hi:[0,1]
	v_pk_fma_f16 v9, v1, v5, v4 op_sel:[1,0,0] neg_lo:[1,0,0] neg_hi:[1,0,0]
	v_pk_fma_f16 v1, v1, v5, v4 op_sel:[1,0,0] neg_lo:[0,0,1] neg_hi:[0,0,1]
	v_pk_add_f16 v4, v6, v7 op_sel:[0,1] op_sel_hi:[1,0]
	v_pk_add_f16 v5, v6, v7 op_sel:[0,1] op_sel_hi:[1,0] neg_lo:[0,1] neg_hi:[0,1]
	v_pk_add_f16 v6, v9, v7 op_sel:[0,1] op_sel_hi:[1,0] neg_lo:[0,1] neg_hi:[0,1]
	;; [unrolled: 1-line block ×3, first 2 shown]
	v_bfi_b32 v4, 0xffff, v4, v5
	v_bfi_b32 v1, 0xffff, v6, v1
	ds_write_b32 v14, v4 offset:1008
	ds_write_b32 v8, v1 offset:1344
.LBB0_26:
	s_or_b32 exec_lo, exec_lo, s5
	s_waitcnt lgkmcnt(0)
	s_barrier
	buffer_gl0_inv
	s_and_saveexec_b32 s0, vcc_lo
	s_cbranch_execz .LBB0_29
; %bb.27:
	v_add_nc_u32_e32 v8, 0x400, v14
	ds_read2_b32 v[4:5], v14 offset1:84
	v_mov_b32_e32 v1, 0
	ds_read2_b32 v[6:7], v14 offset0:168 offset1:252
	ds_read2_b32 v[8:9], v8 offset0:80 offset1:164
	ds_read_b32 v12, v14 offset:2016
	v_lshlrev_b64 v[10:11], 2, v[0:1]
	v_add_co_u32 v1, vcc_lo, s2, v2
	v_add_co_ci_u32_e32 v2, vcc_lo, s3, v3, vcc_lo
	v_add_co_u32 v10, vcc_lo, v1, v10
	v_add_co_ci_u32_e32 v11, vcc_lo, v2, v11, vcc_lo
	v_cmp_eq_u32_e32 vcc_lo, 0x53, v0
	s_waitcnt lgkmcnt(3)
	global_store_dword v[10:11], v4, off
	global_store_dword v[10:11], v5, off offset:336
	s_waitcnt lgkmcnt(2)
	global_store_dword v[10:11], v6, off offset:672
	global_store_dword v[10:11], v7, off offset:1008
	s_waitcnt lgkmcnt(1)
	global_store_dword v[10:11], v8, off offset:1344
	;; [unrolled: 3-line block ×3, first 2 shown]
	s_and_b32 exec_lo, exec_lo, vcc_lo
	s_cbranch_execz .LBB0_29
; %bb.28:
	ds_read_b32 v3, v14 offset:2020
	v_add_co_u32 v0, vcc_lo, 0x800, v1
	v_add_co_ci_u32_e32 v1, vcc_lo, 0, v2, vcc_lo
	s_waitcnt lgkmcnt(0)
	global_store_dword v[0:1], v3, off offset:304
.LBB0_29:
	s_endpgm
	.section	.rodata,"a",@progbits
	.p2align	6, 0x0
	.amdhsa_kernel fft_rtc_back_len588_factors_7_3_4_7_wgs_252_tpt_84_half_ip_CI_unitstride_sbrr_R2C_dirReg
		.amdhsa_group_segment_fixed_size 0
		.amdhsa_private_segment_fixed_size 0
		.amdhsa_kernarg_size 88
		.amdhsa_user_sgpr_count 6
		.amdhsa_user_sgpr_private_segment_buffer 1
		.amdhsa_user_sgpr_dispatch_ptr 0
		.amdhsa_user_sgpr_queue_ptr 0
		.amdhsa_user_sgpr_kernarg_segment_ptr 1
		.amdhsa_user_sgpr_dispatch_id 0
		.amdhsa_user_sgpr_flat_scratch_init 0
		.amdhsa_user_sgpr_private_segment_size 0
		.amdhsa_wavefront_size32 1
		.amdhsa_uses_dynamic_stack 0
		.amdhsa_system_sgpr_private_segment_wavefront_offset 0
		.amdhsa_system_sgpr_workgroup_id_x 1
		.amdhsa_system_sgpr_workgroup_id_y 0
		.amdhsa_system_sgpr_workgroup_id_z 0
		.amdhsa_system_sgpr_workgroup_info 0
		.amdhsa_system_vgpr_workitem_id 0
		.amdhsa_next_free_vgpr 55
		.amdhsa_next_free_sgpr 21
		.amdhsa_reserve_vcc 1
		.amdhsa_reserve_flat_scratch 0
		.amdhsa_float_round_mode_32 0
		.amdhsa_float_round_mode_16_64 0
		.amdhsa_float_denorm_mode_32 3
		.amdhsa_float_denorm_mode_16_64 3
		.amdhsa_dx10_clamp 1
		.amdhsa_ieee_mode 1
		.amdhsa_fp16_overflow 0
		.amdhsa_workgroup_processor_mode 1
		.amdhsa_memory_ordered 1
		.amdhsa_forward_progress 0
		.amdhsa_shared_vgpr_count 0
		.amdhsa_exception_fp_ieee_invalid_op 0
		.amdhsa_exception_fp_denorm_src 0
		.amdhsa_exception_fp_ieee_div_zero 0
		.amdhsa_exception_fp_ieee_overflow 0
		.amdhsa_exception_fp_ieee_underflow 0
		.amdhsa_exception_fp_ieee_inexact 0
		.amdhsa_exception_int_div_zero 0
	.end_amdhsa_kernel
	.text
.Lfunc_end0:
	.size	fft_rtc_back_len588_factors_7_3_4_7_wgs_252_tpt_84_half_ip_CI_unitstride_sbrr_R2C_dirReg, .Lfunc_end0-fft_rtc_back_len588_factors_7_3_4_7_wgs_252_tpt_84_half_ip_CI_unitstride_sbrr_R2C_dirReg
                                        ; -- End function
	.section	.AMDGPU.csdata,"",@progbits
; Kernel info:
; codeLenInByte = 6156
; NumSgprs: 23
; NumVgprs: 55
; ScratchSize: 0
; MemoryBound: 0
; FloatMode: 240
; IeeeMode: 1
; LDSByteSize: 0 bytes/workgroup (compile time only)
; SGPRBlocks: 2
; VGPRBlocks: 6
; NumSGPRsForWavesPerEU: 23
; NumVGPRsForWavesPerEU: 55
; Occupancy: 16
; WaveLimiterHint : 1
; COMPUTE_PGM_RSRC2:SCRATCH_EN: 0
; COMPUTE_PGM_RSRC2:USER_SGPR: 6
; COMPUTE_PGM_RSRC2:TRAP_HANDLER: 0
; COMPUTE_PGM_RSRC2:TGID_X_EN: 1
; COMPUTE_PGM_RSRC2:TGID_Y_EN: 0
; COMPUTE_PGM_RSRC2:TGID_Z_EN: 0
; COMPUTE_PGM_RSRC2:TIDIG_COMP_CNT: 0
	.text
	.p2alignl 6, 3214868480
	.fill 48, 4, 3214868480
	.type	__hip_cuid_f5d6a8a039f5a0eb,@object ; @__hip_cuid_f5d6a8a039f5a0eb
	.section	.bss,"aw",@nobits
	.globl	__hip_cuid_f5d6a8a039f5a0eb
__hip_cuid_f5d6a8a039f5a0eb:
	.byte	0                               ; 0x0
	.size	__hip_cuid_f5d6a8a039f5a0eb, 1

	.ident	"AMD clang version 19.0.0git (https://github.com/RadeonOpenCompute/llvm-project roc-6.4.0 25133 c7fe45cf4b819c5991fe208aaa96edf142730f1d)"
	.section	".note.GNU-stack","",@progbits
	.addrsig
	.addrsig_sym __hip_cuid_f5d6a8a039f5a0eb
	.amdgpu_metadata
---
amdhsa.kernels:
  - .args:
      - .actual_access:  read_only
        .address_space:  global
        .offset:         0
        .size:           8
        .value_kind:     global_buffer
      - .offset:         8
        .size:           8
        .value_kind:     by_value
      - .actual_access:  read_only
        .address_space:  global
        .offset:         16
        .size:           8
        .value_kind:     global_buffer
      - .actual_access:  read_only
        .address_space:  global
        .offset:         24
        .size:           8
        .value_kind:     global_buffer
      - .offset:         32
        .size:           8
        .value_kind:     by_value
      - .actual_access:  read_only
        .address_space:  global
        .offset:         40
        .size:           8
        .value_kind:     global_buffer
      - .actual_access:  read_only
        .address_space:  global
        .offset:         48
        .size:           8
        .value_kind:     global_buffer
      - .offset:         56
        .size:           4
        .value_kind:     by_value
      - .actual_access:  read_only
        .address_space:  global
        .offset:         64
        .size:           8
        .value_kind:     global_buffer
      - .actual_access:  read_only
        .address_space:  global
        .offset:         72
        .size:           8
        .value_kind:     global_buffer
      - .address_space:  global
        .offset:         80
        .size:           8
        .value_kind:     global_buffer
    .group_segment_fixed_size: 0
    .kernarg_segment_align: 8
    .kernarg_segment_size: 88
    .language:       OpenCL C
    .language_version:
      - 2
      - 0
    .max_flat_workgroup_size: 252
    .name:           fft_rtc_back_len588_factors_7_3_4_7_wgs_252_tpt_84_half_ip_CI_unitstride_sbrr_R2C_dirReg
    .private_segment_fixed_size: 0
    .sgpr_count:     23
    .sgpr_spill_count: 0
    .symbol:         fft_rtc_back_len588_factors_7_3_4_7_wgs_252_tpt_84_half_ip_CI_unitstride_sbrr_R2C_dirReg.kd
    .uniform_work_group_size: 1
    .uses_dynamic_stack: false
    .vgpr_count:     55
    .vgpr_spill_count: 0
    .wavefront_size: 32
    .workgroup_processor_mode: 1
amdhsa.target:   amdgcn-amd-amdhsa--gfx1030
amdhsa.version:
  - 1
  - 2
...

	.end_amdgpu_metadata
